;; amdgpu-corpus repo=ROCm/rccl kind=compiled arch=gfx1100 opt=O3
	.text
	.amdgcn_target "amdgcn-amd-amdhsa--gfx1100"
	.amdhsa_code_object_version 6
	.protected	_Z10PingKernelPmS_S_    ; -- Begin function _Z10PingKernelPmS_S_
	.globl	_Z10PingKernelPmS_S_
	.p2align	8
	.type	_Z10PingKernelPmS_S_,@function
_Z10PingKernelPmS_S_:                   ; @_Z10PingKernelPmS_S_
; %bb.0:
	s_clause 0x1
	s_load_b128 s[4:7], s[0:1], 0x0
	s_load_b64 s[0:1], s[0:1], 0x10
	v_mov_b32_e32 v0, 0
	s_mov_b32 s2, 1
	s_mov_b32 s3, 0
.LBB0_1:                                ; =>This Loop Header: Depth=1
                                        ;     Child Loop BB0_2 Depth 2
                                        ;     Child Loop BB0_4 Depth 2
	;; [unrolled: 1-line block ×1000, first 2 shown]
	s_delay_alu instid0(SALU_CYCLE_1)
	v_dual_mov_b32 v1, s2 :: v_dual_mov_b32 v2, s3
	s_waitcnt lgkmcnt(0)
	global_store_b64 v0, v[1:2], s[6:7]
.LBB0_2:                                ;   Parent Loop BB0_1 Depth=1
                                        ; =>  This Inner Loop Header: Depth=2
	global_load_b64 v[1:2], v0, s[4:5] glc
	s_waitcnt vmcnt(0)
	v_cmp_ne_u64_e32 vcc_lo, s[2:3], v[1:2]
	s_cbranch_vccnz .LBB0_2
; %bb.3:                                ;   in Loop: Header=BB0_1 Depth=1
	s_add_i32 s8, s2, 1
	s_mov_b32 s9, s3
	s_delay_alu instid0(SALU_CYCLE_1)
	v_dual_mov_b32 v1, s8 :: v_dual_mov_b32 v2, s9
	global_store_b64 v0, v[1:2], s[6:7]
.LBB0_4:                                ;   Parent Loop BB0_1 Depth=1
                                        ; =>  This Inner Loop Header: Depth=2
	global_load_b64 v[1:2], v0, s[4:5] glc
	s_waitcnt vmcnt(0)
	v_cmp_ne_u64_e32 vcc_lo, s[8:9], v[1:2]
	s_cbranch_vccnz .LBB0_4
; %bb.5:                                ;   in Loop: Header=BB0_1 Depth=1
	s_add_i32 s8, s2, 2
	s_mov_b32 s9, s3
	s_delay_alu instid0(SALU_CYCLE_1)
	v_dual_mov_b32 v1, s8 :: v_dual_mov_b32 v2, s9
	;; [unrolled: 12-line block ×4, first 2 shown]
	global_store_b64 v0, v[1:2], s[6:7]
.LBB0_10:                               ;   Parent Loop BB0_1 Depth=1
                                        ; =>  This Inner Loop Header: Depth=2
	global_load_b64 v[1:2], v0, s[4:5] glc
	s_waitcnt vmcnt(0)
	v_cmp_ne_u64_e32 vcc_lo, s[8:9], v[1:2]
	s_cbranch_vccnz .LBB0_10
; %bb.11:                               ;   in Loop: Header=BB0_1 Depth=1
	s_add_i32 s8, s2, 5
	s_mov_b32 s9, s3
	s_delay_alu instid0(SALU_CYCLE_1)
	v_dual_mov_b32 v1, s8 :: v_dual_mov_b32 v2, s9
	global_store_b64 v0, v[1:2], s[6:7]
.LBB0_12:                               ;   Parent Loop BB0_1 Depth=1
                                        ; =>  This Inner Loop Header: Depth=2
	global_load_b64 v[1:2], v0, s[4:5] glc
	s_waitcnt vmcnt(0)
	v_cmp_ne_u64_e32 vcc_lo, s[8:9], v[1:2]
	s_cbranch_vccnz .LBB0_12
; %bb.13:                               ;   in Loop: Header=BB0_1 Depth=1
	s_add_i32 s8, s2, 6
	s_mov_b32 s9, s3
	s_delay_alu instid0(SALU_CYCLE_1)
	v_dual_mov_b32 v1, s8 :: v_dual_mov_b32 v2, s9
	;; [unrolled: 12-line block ×45, first 2 shown]
	global_store_b64 v0, v[1:2], s[6:7]
.LBB0_100:                              ;   Parent Loop BB0_1 Depth=1
                                        ; =>  This Inner Loop Header: Depth=2
	global_load_b64 v[1:2], v0, s[4:5] glc
	s_waitcnt vmcnt(0)
	v_cmp_ne_u64_e32 vcc_lo, s[8:9], v[1:2]
	s_cbranch_vccnz .LBB0_100
; %bb.101:                              ;   in Loop: Header=BB0_1 Depth=1
	s_add_i32 s8, s2, 50
	s_mov_b32 s9, s3
	s_delay_alu instid0(SALU_CYCLE_1)
	v_dual_mov_b32 v1, s8 :: v_dual_mov_b32 v2, s9
	global_store_b64 v0, v[1:2], s[6:7]
.LBB0_102:                              ;   Parent Loop BB0_1 Depth=1
                                        ; =>  This Inner Loop Header: Depth=2
	global_load_b64 v[1:2], v0, s[4:5] glc
	s_waitcnt vmcnt(0)
	v_cmp_ne_u64_e32 vcc_lo, s[8:9], v[1:2]
	s_cbranch_vccnz .LBB0_102
; %bb.103:                              ;   in Loop: Header=BB0_1 Depth=1
	s_add_i32 s8, s2, 51
	s_mov_b32 s9, s3
	s_delay_alu instid0(SALU_CYCLE_1)
	v_dual_mov_b32 v1, s8 :: v_dual_mov_b32 v2, s9
	;; [unrolled: 12-line block ×450, first 2 shown]
	global_store_b64 v0, v[1:2], s[6:7]
.LBB0_1000:                             ;   Parent Loop BB0_1 Depth=1
                                        ; =>  This Inner Loop Header: Depth=2
	global_load_b64 v[1:2], v0, s[4:5] glc
	s_waitcnt vmcnt(0)
	v_cmp_ne_u64_e32 vcc_lo, s[8:9], v[1:2]
	s_cbranch_vccnz .LBB0_1000
; %bb.1001:                             ;   in Loop: Header=BB0_1 Depth=1
	s_add_i32 s8, s2, 0x1f4
	s_mov_b32 s9, s3
	s_delay_alu instid0(SALU_CYCLE_1)
	v_dual_mov_b32 v1, s8 :: v_dual_mov_b32 v2, s9
	global_store_b64 v0, v[1:2], s[6:7]
.LBB0_1002:                             ;   Parent Loop BB0_1 Depth=1
                                        ; =>  This Inner Loop Header: Depth=2
	global_load_b64 v[1:2], v0, s[4:5] glc
	s_waitcnt vmcnt(0)
	v_cmp_ne_u64_e32 vcc_lo, s[8:9], v[1:2]
	s_cbranch_vccnz .LBB0_1002
; %bb.1003:                             ;   in Loop: Header=BB0_1 Depth=1
	s_add_i32 s8, s2, 0x1f5
	s_mov_b32 s9, s3
	s_delay_alu instid0(SALU_CYCLE_1)
	v_dual_mov_b32 v1, s8 :: v_dual_mov_b32 v2, s9
	;; [unrolled: 12-line block ×500, first 2 shown]
	global_store_b64 v0, v[1:2], s[6:7]
.LBB0_2000:                             ;   Parent Loop BB0_1 Depth=1
                                        ; =>  This Inner Loop Header: Depth=2
	global_load_b64 v[1:2], v0, s[4:5] glc
	s_waitcnt vmcnt(0)
	v_cmp_ne_u64_e32 vcc_lo, s[8:9], v[1:2]
	s_cbranch_vccnz .LBB0_2000
; %bb.2001:                             ;   in Loop: Header=BB0_1 Depth=1
	s_addk_i32 s2, 0x3e8
	s_delay_alu instid0(SALU_CYCLE_1)
	s_cmpk_eq_i32 s2, 0x7d1
	s_cbranch_scc0 .LBB0_1
; %bb.2002:
	v_mov_b32_e32 v0, 0
	s_movk_i32 s8, 0x7d1
	s_sendmsg_rtn_b64 s[2:3], sendmsg(MSG_RTN_GET_REALTIME)
	s_mov_b32 s9, 0
.LBB0_2003:                             ; =>This Loop Header: Depth=1
                                        ;     Child Loop BB0_2004 Depth 2
                                        ;     Child Loop BB0_2006 Depth 2
	;; [unrolled: 1-line block ×1250, first 2 shown]
	s_delay_alu instid0(SALU_CYCLE_1)
	v_dual_mov_b32 v1, s8 :: v_dual_mov_b32 v2, s9
	global_store_b64 v0, v[1:2], s[6:7]
.LBB0_2004:                             ;   Parent Loop BB0_2003 Depth=1
                                        ; =>  This Inner Loop Header: Depth=2
	global_load_b64 v[1:2], v0, s[4:5] glc
	s_waitcnt vmcnt(0)
	v_cmp_ne_u64_e32 vcc_lo, s[8:9], v[1:2]
	s_cbranch_vccnz .LBB0_2004
; %bb.2005:                             ;   in Loop: Header=BB0_2003 Depth=1
	s_add_i32 s10, s8, 1
	s_mov_b32 s11, s9
	s_delay_alu instid0(SALU_CYCLE_1)
	v_dual_mov_b32 v1, s10 :: v_dual_mov_b32 v2, s11
	global_store_b64 v0, v[1:2], s[6:7]
.LBB0_2006:                             ;   Parent Loop BB0_2003 Depth=1
                                        ; =>  This Inner Loop Header: Depth=2
	global_load_b64 v[1:2], v0, s[4:5] glc
	s_waitcnt vmcnt(0)
	v_cmp_ne_u64_e32 vcc_lo, s[10:11], v[1:2]
	s_cbranch_vccnz .LBB0_2006
; %bb.2007:                             ;   in Loop: Header=BB0_2003 Depth=1
	s_add_i32 s10, s8, 2
	s_mov_b32 s11, s9
	;; [unrolled: 12-line block ×1249, first 2 shown]
	s_delay_alu instid0(SALU_CYCLE_1)
	v_dual_mov_b32 v1, s10 :: v_dual_mov_b32 v2, s11
	global_store_b64 v0, v[1:2], s[6:7]
.LBB0_4502:                             ;   Parent Loop BB0_2003 Depth=1
                                        ; =>  This Inner Loop Header: Depth=2
	global_load_b64 v[1:2], v0, s[4:5] glc
	s_waitcnt vmcnt(0)
	v_cmp_ne_u64_e32 vcc_lo, s[10:11], v[1:2]
	s_cbranch_vccnz .LBB0_4502
; %bb.4503:                             ;   in Loop: Header=BB0_2003 Depth=1
	s_addk_i32 s8, 0x4e2
	s_delay_alu instid0(SALU_CYCLE_1)
	s_cmpk_eq_i32 s8, 0x2ee1
	s_cbranch_scc0 .LBB0_2003
; %bb.4504:
	s_sendmsg_rtn_b64 s[4:5], sendmsg(MSG_RTN_GET_REALTIME)
	s_waitcnt lgkmcnt(0)
	s_sub_u32 s2, s4, s2
	s_subb_u32 s3, s5, s3
	v_mov_b32_e32 v0, s2
	v_dual_mov_b32 v2, 0 :: v_dual_mov_b32 v1, s3
	global_store_b64 v2, v[0:1], s[0:1]
	s_nop 0
	s_sendmsg sendmsg(MSG_DEALLOC_VGPRS)
	s_endpgm
	.section	.rodata,"a",@progbits
	.p2align	6, 0x0
	.amdhsa_kernel _Z10PingKernelPmS_S_
		.amdhsa_group_segment_fixed_size 0
		.amdhsa_private_segment_fixed_size 0
		.amdhsa_kernarg_size 24
		.amdhsa_user_sgpr_count 15
		.amdhsa_user_sgpr_dispatch_ptr 0
		.amdhsa_user_sgpr_queue_ptr 0
		.amdhsa_user_sgpr_kernarg_segment_ptr 1
		.amdhsa_user_sgpr_dispatch_id 0
		.amdhsa_user_sgpr_private_segment_size 0
		.amdhsa_wavefront_size32 1
		.amdhsa_uses_dynamic_stack 0
		.amdhsa_enable_private_segment 0
		.amdhsa_system_sgpr_workgroup_id_x 1
		.amdhsa_system_sgpr_workgroup_id_y 0
		.amdhsa_system_sgpr_workgroup_id_z 0
		.amdhsa_system_sgpr_workgroup_info 0
		.amdhsa_system_vgpr_workitem_id 0
		.amdhsa_next_free_vgpr 3
		.amdhsa_next_free_sgpr 12
		.amdhsa_reserve_vcc 1
		.amdhsa_float_round_mode_32 0
		.amdhsa_float_round_mode_16_64 0
		.amdhsa_float_denorm_mode_32 3
		.amdhsa_float_denorm_mode_16_64 3
		.amdhsa_dx10_clamp 1
		.amdhsa_ieee_mode 1
		.amdhsa_fp16_overflow 0
		.amdhsa_workgroup_processor_mode 1
		.amdhsa_memory_ordered 1
		.amdhsa_forward_progress 0
		.amdhsa_shared_vgpr_count 0
		.amdhsa_exception_fp_ieee_invalid_op 0
		.amdhsa_exception_fp_denorm_src 0
		.amdhsa_exception_fp_ieee_div_zero 0
		.amdhsa_exception_fp_ieee_overflow 0
		.amdhsa_exception_fp_ieee_underflow 0
		.amdhsa_exception_fp_ieee_inexact 0
		.amdhsa_exception_int_div_zero 0
	.end_amdhsa_kernel
	.text
.Lfunc_end0:
	.size	_Z10PingKernelPmS_S_, .Lfunc_end0-_Z10PingKernelPmS_S_
                                        ; -- End function
	.section	.AMDGPU.csdata,"",@progbits
; Kernel info:
; codeLenInByte = 116596
; NumSgprs: 14
; NumVgprs: 3
; ScratchSize: 0
; MemoryBound: 1
; FloatMode: 240
; IeeeMode: 1
; LDSByteSize: 0 bytes/workgroup (compile time only)
; SGPRBlocks: 1
; VGPRBlocks: 0
; NumSGPRsForWavesPerEU: 14
; NumVGPRsForWavesPerEU: 3
; Occupancy: 16
; WaveLimiterHint : 0
; COMPUTE_PGM_RSRC2:SCRATCH_EN: 0
; COMPUTE_PGM_RSRC2:USER_SGPR: 15
; COMPUTE_PGM_RSRC2:TRAP_HANDLER: 0
; COMPUTE_PGM_RSRC2:TGID_X_EN: 1
; COMPUTE_PGM_RSRC2:TGID_Y_EN: 0
; COMPUTE_PGM_RSRC2:TGID_Z_EN: 0
; COMPUTE_PGM_RSRC2:TIDIG_COMP_CNT: 0
	.text
	.protected	_Z10PongKernelPmS_S_    ; -- Begin function _Z10PongKernelPmS_S_
	.globl	_Z10PongKernelPmS_S_
	.p2align	8
	.type	_Z10PongKernelPmS_S_,@function
_Z10PongKernelPmS_S_:                   ; @_Z10PongKernelPmS_S_
; %bb.0:
	s_clause 0x1
	s_load_b128 s[4:7], s[0:1], 0x0
	s_load_b64 s[0:1], s[0:1], 0x10
	v_mov_b32_e32 v0, 0
	s_mov_b32 s2, 1
	s_mov_b32 s3, 0
.LBB1_1:                                ; =>This Loop Header: Depth=1
                                        ;     Child Loop BB1_3 Depth 2
                                        ;     Child Loop BB1_5 Depth 2
	;; [unrolled: 1-line block ×999, first 2 shown]
	s_waitcnt lgkmcnt(0)
	global_load_b64 v[1:2], v0, s[4:5] glc
	s_waitcnt vmcnt(0)
	v_cmp_ne_u64_e32 vcc_lo, s[2:3], v[1:2]
	s_cbranch_vccnz .LBB1_1
; %bb.2:                                ;   in Loop: Header=BB1_1 Depth=1
	v_dual_mov_b32 v1, s2 :: v_dual_mov_b32 v2, s3
	s_add_i32 s8, s2, 1
	s_mov_b32 s9, s3
	global_store_b64 v0, v[1:2], s[6:7]
.LBB1_3:                                ;   Parent Loop BB1_1 Depth=1
                                        ; =>  This Inner Loop Header: Depth=2
	global_load_b64 v[1:2], v0, s[4:5] glc
	s_waitcnt vmcnt(0)
	v_cmp_ne_u64_e32 vcc_lo, s[8:9], v[1:2]
	s_cbranch_vccnz .LBB1_3
; %bb.4:                                ;   in Loop: Header=BB1_1 Depth=1
	v_dual_mov_b32 v1, s8 :: v_dual_mov_b32 v2, s9
	s_add_i32 s8, s2, 2
	s_mov_b32 s9, s3
	global_store_b64 v0, v[1:2], s[6:7]
.LBB1_5:                                ;   Parent Loop BB1_1 Depth=1
                                        ; =>  This Inner Loop Header: Depth=2
	global_load_b64 v[1:2], v0, s[4:5] glc
	s_waitcnt vmcnt(0)
	v_cmp_ne_u64_e32 vcc_lo, s[8:9], v[1:2]
	s_cbranch_vccnz .LBB1_5
; %bb.6:                                ;   in Loop: Header=BB1_1 Depth=1
	v_dual_mov_b32 v1, s8 :: v_dual_mov_b32 v2, s9
	s_add_i32 s8, s2, 3
	s_mov_b32 s9, s3
	global_store_b64 v0, v[1:2], s[6:7]
.LBB1_7:                                ;   Parent Loop BB1_1 Depth=1
                                        ; =>  This Inner Loop Header: Depth=2
	global_load_b64 v[1:2], v0, s[4:5] glc
	s_waitcnt vmcnt(0)
	v_cmp_ne_u64_e32 vcc_lo, s[8:9], v[1:2]
	s_cbranch_vccnz .LBB1_7
; %bb.8:                                ;   in Loop: Header=BB1_1 Depth=1
	v_dual_mov_b32 v1, s8 :: v_dual_mov_b32 v2, s9
	s_add_i32 s8, s2, 4
	s_mov_b32 s9, s3
	global_store_b64 v0, v[1:2], s[6:7]
.LBB1_9:                                ;   Parent Loop BB1_1 Depth=1
                                        ; =>  This Inner Loop Header: Depth=2
	global_load_b64 v[1:2], v0, s[4:5] glc
	s_waitcnt vmcnt(0)
	v_cmp_ne_u64_e32 vcc_lo, s[8:9], v[1:2]
	s_cbranch_vccnz .LBB1_9
; %bb.10:                               ;   in Loop: Header=BB1_1 Depth=1
	v_dual_mov_b32 v1, s8 :: v_dual_mov_b32 v2, s9
	s_add_i32 s8, s2, 5
	s_mov_b32 s9, s3
	global_store_b64 v0, v[1:2], s[6:7]
.LBB1_11:                               ;   Parent Loop BB1_1 Depth=1
                                        ; =>  This Inner Loop Header: Depth=2
	global_load_b64 v[1:2], v0, s[4:5] glc
	s_waitcnt vmcnt(0)
	v_cmp_ne_u64_e32 vcc_lo, s[8:9], v[1:2]
	s_cbranch_vccnz .LBB1_11
; %bb.12:                               ;   in Loop: Header=BB1_1 Depth=1
	v_dual_mov_b32 v1, s8 :: v_dual_mov_b32 v2, s9
	s_add_i32 s8, s2, 6
	s_mov_b32 s9, s3
	global_store_b64 v0, v[1:2], s[6:7]
.LBB1_13:                               ;   Parent Loop BB1_1 Depth=1
                                        ; =>  This Inner Loop Header: Depth=2
	global_load_b64 v[1:2], v0, s[4:5] glc
	s_waitcnt vmcnt(0)
	v_cmp_ne_u64_e32 vcc_lo, s[8:9], v[1:2]
	s_cbranch_vccnz .LBB1_13
	;; [unrolled: 11-line block ×45, first 2 shown]
; %bb.100:                              ;   in Loop: Header=BB1_1 Depth=1
	v_dual_mov_b32 v1, s8 :: v_dual_mov_b32 v2, s9
	s_add_i32 s8, s2, 50
	s_mov_b32 s9, s3
	global_store_b64 v0, v[1:2], s[6:7]
.LBB1_101:                              ;   Parent Loop BB1_1 Depth=1
                                        ; =>  This Inner Loop Header: Depth=2
	global_load_b64 v[1:2], v0, s[4:5] glc
	s_waitcnt vmcnt(0)
	v_cmp_ne_u64_e32 vcc_lo, s[8:9], v[1:2]
	s_cbranch_vccnz .LBB1_101
; %bb.102:                              ;   in Loop: Header=BB1_1 Depth=1
	v_dual_mov_b32 v1, s8 :: v_dual_mov_b32 v2, s9
	s_add_i32 s8, s2, 51
	s_mov_b32 s9, s3
	global_store_b64 v0, v[1:2], s[6:7]
.LBB1_103:                              ;   Parent Loop BB1_1 Depth=1
                                        ; =>  This Inner Loop Header: Depth=2
	global_load_b64 v[1:2], v0, s[4:5] glc
	s_waitcnt vmcnt(0)
	v_cmp_ne_u64_e32 vcc_lo, s[8:9], v[1:2]
	s_cbranch_vccnz .LBB1_103
	;; [unrolled: 11-line block ×450, first 2 shown]
; %bb.1000:                             ;   in Loop: Header=BB1_1 Depth=1
	v_dual_mov_b32 v1, s8 :: v_dual_mov_b32 v2, s9
	s_add_i32 s8, s2, 0x1f4
	s_mov_b32 s9, s3
	global_store_b64 v0, v[1:2], s[6:7]
.LBB1_1001:                             ;   Parent Loop BB1_1 Depth=1
                                        ; =>  This Inner Loop Header: Depth=2
	global_load_b64 v[1:2], v0, s[4:5] glc
	s_waitcnt vmcnt(0)
	v_cmp_ne_u64_e32 vcc_lo, s[8:9], v[1:2]
	s_cbranch_vccnz .LBB1_1001
; %bb.1002:                             ;   in Loop: Header=BB1_1 Depth=1
	v_dual_mov_b32 v1, s8 :: v_dual_mov_b32 v2, s9
	s_add_i32 s8, s2, 0x1f5
	s_mov_b32 s9, s3
	global_store_b64 v0, v[1:2], s[6:7]
.LBB1_1003:                             ;   Parent Loop BB1_1 Depth=1
                                        ; =>  This Inner Loop Header: Depth=2
	global_load_b64 v[1:2], v0, s[4:5] glc
	s_waitcnt vmcnt(0)
	v_cmp_ne_u64_e32 vcc_lo, s[8:9], v[1:2]
	s_cbranch_vccnz .LBB1_1003
	;; [unrolled: 11-line block ×500, first 2 shown]
; %bb.2000:                             ;   in Loop: Header=BB1_1 Depth=1
	v_dual_mov_b32 v1, s8 :: v_dual_mov_b32 v2, s9
	s_addk_i32 s2, 0x3e8
	s_delay_alu instid0(SALU_CYCLE_1)
	s_cmpk_eq_i32 s2, 0x7d1
	global_store_b64 v0, v[1:2], s[6:7]
	s_cbranch_scc0 .LBB1_1
; %bb.2001:
	v_mov_b32_e32 v0, 0
	s_movk_i32 s8, 0x7d1
	s_sendmsg_rtn_b64 s[2:3], sendmsg(MSG_RTN_GET_REALTIME)
	s_mov_b32 s9, 0
.LBB1_2002:                             ; =>This Loop Header: Depth=1
                                        ;     Child Loop BB1_2004 Depth 2
                                        ;     Child Loop BB1_2006 Depth 2
	;; [unrolled: 1-line block ×1249, first 2 shown]
	global_load_b64 v[1:2], v0, s[4:5] glc
	s_waitcnt vmcnt(0)
	v_cmp_ne_u64_e32 vcc_lo, s[8:9], v[1:2]
	s_cbranch_vccnz .LBB1_2002
; %bb.2003:                             ;   in Loop: Header=BB1_2002 Depth=1
	v_dual_mov_b32 v1, s8 :: v_dual_mov_b32 v2, s9
	s_add_i32 s10, s8, 1
	s_mov_b32 s11, s9
	global_store_b64 v0, v[1:2], s[6:7]
.LBB1_2004:                             ;   Parent Loop BB1_2002 Depth=1
                                        ; =>  This Inner Loop Header: Depth=2
	global_load_b64 v[1:2], v0, s[4:5] glc
	s_waitcnt vmcnt(0)
	v_cmp_ne_u64_e32 vcc_lo, s[10:11], v[1:2]
	s_cbranch_vccnz .LBB1_2004
; %bb.2005:                             ;   in Loop: Header=BB1_2002 Depth=1
	v_dual_mov_b32 v1, s10 :: v_dual_mov_b32 v2, s11
	s_add_i32 s10, s8, 2
	s_mov_b32 s11, s9
	global_store_b64 v0, v[1:2], s[6:7]
.LBB1_2006:                             ;   Parent Loop BB1_2002 Depth=1
                                        ; =>  This Inner Loop Header: Depth=2
	global_load_b64 v[1:2], v0, s[4:5] glc
	s_waitcnt vmcnt(0)
	v_cmp_ne_u64_e32 vcc_lo, s[10:11], v[1:2]
	s_cbranch_vccnz .LBB1_2006
	;; [unrolled: 11-line block ×1249, first 2 shown]
; %bb.4501:                             ;   in Loop: Header=BB1_2002 Depth=1
	v_dual_mov_b32 v1, s10 :: v_dual_mov_b32 v2, s11
	s_addk_i32 s8, 0x4e2
	s_delay_alu instid0(SALU_CYCLE_1)
	s_cmpk_eq_i32 s8, 0x2ee1
	global_store_b64 v0, v[1:2], s[6:7]
	s_cbranch_scc0 .LBB1_2002
; %bb.4502:
	s_sendmsg_rtn_b64 s[4:5], sendmsg(MSG_RTN_GET_REALTIME)
	s_waitcnt lgkmcnt(0)
	s_sub_u32 s2, s4, s2
	s_subb_u32 s3, s5, s3
	v_mov_b32_e32 v0, s2
	v_dual_mov_b32 v2, 0 :: v_dual_mov_b32 v1, s3
	global_store_b64 v2, v[0:1], s[0:1]
	s_nop 0
	s_sendmsg sendmsg(MSG_DEALLOC_VGPRS)
	s_endpgm
	.section	.rodata,"a",@progbits
	.p2align	6, 0x0
	.amdhsa_kernel _Z10PongKernelPmS_S_
		.amdhsa_group_segment_fixed_size 0
		.amdhsa_private_segment_fixed_size 0
		.amdhsa_kernarg_size 24
		.amdhsa_user_sgpr_count 15
		.amdhsa_user_sgpr_dispatch_ptr 0
		.amdhsa_user_sgpr_queue_ptr 0
		.amdhsa_user_sgpr_kernarg_segment_ptr 1
		.amdhsa_user_sgpr_dispatch_id 0
		.amdhsa_user_sgpr_private_segment_size 0
		.amdhsa_wavefront_size32 1
		.amdhsa_uses_dynamic_stack 0
		.amdhsa_enable_private_segment 0
		.amdhsa_system_sgpr_workgroup_id_x 1
		.amdhsa_system_sgpr_workgroup_id_y 0
		.amdhsa_system_sgpr_workgroup_id_z 0
		.amdhsa_system_sgpr_workgroup_info 0
		.amdhsa_system_vgpr_workitem_id 0
		.amdhsa_next_free_vgpr 3
		.amdhsa_next_free_sgpr 12
		.amdhsa_reserve_vcc 1
		.amdhsa_float_round_mode_32 0
		.amdhsa_float_round_mode_16_64 0
		.amdhsa_float_denorm_mode_32 3
		.amdhsa_float_denorm_mode_16_64 3
		.amdhsa_dx10_clamp 1
		.amdhsa_ieee_mode 1
		.amdhsa_fp16_overflow 0
		.amdhsa_workgroup_processor_mode 1
		.amdhsa_memory_ordered 1
		.amdhsa_forward_progress 0
		.amdhsa_shared_vgpr_count 0
		.amdhsa_exception_fp_ieee_invalid_op 0
		.amdhsa_exception_fp_denorm_src 0
		.amdhsa_exception_fp_ieee_div_zero 0
		.amdhsa_exception_fp_ieee_overflow 0
		.amdhsa_exception_fp_ieee_underflow 0
		.amdhsa_exception_fp_ieee_inexact 0
		.amdhsa_exception_int_div_zero 0
	.end_amdhsa_kernel
	.text
.Lfunc_end1:
	.size	_Z10PongKernelPmS_S_, .Lfunc_end1-_Z10PongKernelPmS_S_
                                        ; -- End function
	.section	.AMDGPU.csdata,"",@progbits
; Kernel info:
; codeLenInByte = 107596
; NumSgprs: 14
; NumVgprs: 3
; ScratchSize: 0
; MemoryBound: 1
; FloatMode: 240
; IeeeMode: 1
; LDSByteSize: 0 bytes/workgroup (compile time only)
; SGPRBlocks: 1
; VGPRBlocks: 0
; NumSGPRsForWavesPerEU: 14
; NumVGPRsForWavesPerEU: 3
; Occupancy: 16
; WaveLimiterHint : 0
; COMPUTE_PGM_RSRC2:SCRATCH_EN: 0
; COMPUTE_PGM_RSRC2:USER_SGPR: 15
; COMPUTE_PGM_RSRC2:TRAP_HANDLER: 0
; COMPUTE_PGM_RSRC2:TGID_X_EN: 1
; COMPUTE_PGM_RSRC2:TGID_Y_EN: 0
; COMPUTE_PGM_RSRC2:TGID_Z_EN: 0
; COMPUTE_PGM_RSRC2:TIDIG_COMP_CNT: 0
	.text
	.p2alignl 7, 3214868480
	.fill 96, 4, 3214868480
	.type	__hip_cuid_9081db8a9cece111,@object ; @__hip_cuid_9081db8a9cece111
	.section	.bss,"aw",@nobits
	.globl	__hip_cuid_9081db8a9cece111
__hip_cuid_9081db8a9cece111:
	.byte	0                               ; 0x0
	.size	__hip_cuid_9081db8a9cece111, 1

	.ident	"AMD clang version 19.0.0git (https://github.com/RadeonOpenCompute/llvm-project roc-6.4.0 25133 c7fe45cf4b819c5991fe208aaa96edf142730f1d)"
	.section	".note.GNU-stack","",@progbits
	.addrsig
	.addrsig_sym __hip_cuid_9081db8a9cece111
	.amdgpu_metadata
---
amdhsa.kernels:
  - .args:
      - .address_space:  global
        .offset:         0
        .size:           8
        .value_kind:     global_buffer
      - .address_space:  global
        .offset:         8
        .size:           8
        .value_kind:     global_buffer
      - .address_space:  global
        .offset:         16
        .size:           8
        .value_kind:     global_buffer
    .group_segment_fixed_size: 0
    .kernarg_segment_align: 8
    .kernarg_segment_size: 24
    .language:       OpenCL C
    .language_version:
      - 2
      - 0
    .max_flat_workgroup_size: 1024
    .name:           _Z10PingKernelPmS_S_
    .private_segment_fixed_size: 0
    .sgpr_count:     14
    .sgpr_spill_count: 0
    .symbol:         _Z10PingKernelPmS_S_.kd
    .uniform_work_group_size: 1
    .uses_dynamic_stack: false
    .vgpr_count:     3
    .vgpr_spill_count: 0
    .wavefront_size: 32
    .workgroup_processor_mode: 1
  - .args:
      - .address_space:  global
        .offset:         0
        .size:           8
        .value_kind:     global_buffer
      - .address_space:  global
        .offset:         8
        .size:           8
        .value_kind:     global_buffer
      - .address_space:  global
        .offset:         16
        .size:           8
        .value_kind:     global_buffer
    .group_segment_fixed_size: 0
    .kernarg_segment_align: 8
    .kernarg_segment_size: 24
    .language:       OpenCL C
    .language_version:
      - 2
      - 0
    .max_flat_workgroup_size: 1024
    .name:           _Z10PongKernelPmS_S_
    .private_segment_fixed_size: 0
    .sgpr_count:     14
    .sgpr_spill_count: 0
    .symbol:         _Z10PongKernelPmS_S_.kd
    .uniform_work_group_size: 1
    .uses_dynamic_stack: false
    .vgpr_count:     3
    .vgpr_spill_count: 0
    .wavefront_size: 32
    .workgroup_processor_mode: 1
amdhsa.target:   amdgcn-amd-amdhsa--gfx1100
amdhsa.version:
  - 1
  - 2
...

	.end_amdgpu_metadata
